;; amdgpu-corpus repo=ROCm/rocFFT kind=compiled arch=gfx906 opt=O3
	.text
	.amdgcn_target "amdgcn-amd-amdhsa--gfx906"
	.amdhsa_code_object_version 6
	.protected	bluestein_single_back_len280_dim1_dp_op_CI_CI ; -- Begin function bluestein_single_back_len280_dim1_dp_op_CI_CI
	.globl	bluestein_single_back_len280_dim1_dp_op_CI_CI
	.p2align	8
	.type	bluestein_single_back_len280_dim1_dp_op_CI_CI,@function
bluestein_single_back_len280_dim1_dp_op_CI_CI: ; @bluestein_single_back_len280_dim1_dp_op_CI_CI
; %bb.0:
	s_load_dwordx4 s[0:3], s[4:5], 0x28
	v_mul_u32_u24_e32 v1, 0x493, v0
	v_add_u32_sdwa v72, s6, v1 dst_sel:DWORD dst_unused:UNUSED_PAD src0_sel:DWORD src1_sel:WORD_1
	v_mov_b32_e32 v73, 0
	s_waitcnt lgkmcnt(0)
	v_cmp_gt_u64_e32 vcc, s[0:1], v[72:73]
	s_and_saveexec_b64 s[0:1], vcc
	s_cbranch_execz .LBB0_23
; %bb.1:
	s_load_dwordx2 s[14:15], s[4:5], 0x0
	s_load_dwordx2 s[12:13], s[4:5], 0x38
	v_mov_b32_e32 v2, 56
	v_mul_lo_u16_sdwa v1, v1, v2 dst_sel:DWORD dst_unused:UNUSED_PAD src0_sel:WORD_1 src1_sel:DWORD
	v_sub_u16_e32 v81, v0, v1
	v_cmp_gt_u16_e64 s[0:1], 35, v81
	v_lshlrev_b32_e32 v82, 4, v81
	s_and_saveexec_b64 s[6:7], s[0:1]
	s_cbranch_execz .LBB0_3
; %bb.2:
	s_load_dwordx2 s[8:9], s[4:5], 0x18
	s_waitcnt lgkmcnt(0)
	s_load_dwordx4 s[8:11], s[8:9], 0x0
	s_waitcnt lgkmcnt(0)
	v_mad_u64_u32 v[0:1], s[16:17], s10, v72, 0
	v_mad_u64_u32 v[2:3], s[16:17], s8, v81, 0
	;; [unrolled: 1-line block ×4, first 2 shown]
	v_mov_b32_e32 v1, v4
	v_lshlrev_b64 v[0:1], 4, v[0:1]
	v_mov_b32_e32 v3, v5
	v_mov_b32_e32 v6, s3
	v_lshlrev_b64 v[2:3], 4, v[2:3]
	v_add_co_u32_e32 v0, vcc, s2, v0
	v_addc_co_u32_e32 v1, vcc, v6, v1, vcc
	v_add_co_u32_e32 v16, vcc, v0, v2
	s_mul_i32 s2, s9, 0x230
	s_mul_hi_u32 s3, s8, 0x230
	v_addc_co_u32_e32 v17, vcc, v1, v3, vcc
	s_add_i32 s3, s3, s2
	s_mul_i32 s2, s8, 0x230
	v_mov_b32_e32 v0, s3
	v_add_co_u32_e32 v18, vcc, s2, v16
	v_addc_co_u32_e32 v19, vcc, v17, v0, vcc
	global_load_dwordx4 v[0:3], v[16:17], off
	global_load_dwordx4 v[4:7], v[18:19], off
	global_load_dwordx4 v[8:11], v82, s[14:15]
	global_load_dwordx4 v[12:15], v82, s[14:15] offset:560
	v_mov_b32_e32 v16, s3
	v_add_co_u32_e32 v48, vcc, s2, v18
	v_addc_co_u32_e32 v49, vcc, v19, v16, vcc
	v_mov_b32_e32 v24, s3
	v_add_co_u32_e32 v50, vcc, s2, v48
	v_addc_co_u32_e32 v51, vcc, v49, v24, vcc
	global_load_dwordx4 v[16:19], v82, s[14:15] offset:1120
	global_load_dwordx4 v[20:23], v82, s[14:15] offset:1680
	global_load_dwordx4 v[24:27], v[48:49], off
	global_load_dwordx4 v[28:31], v[50:51], off
	global_load_dwordx4 v[32:35], v82, s[14:15] offset:2240
	global_load_dwordx4 v[36:39], v82, s[14:15] offset:2800
	;; [unrolled: 1-line block ×4, first 2 shown]
	v_mov_b32_e32 v48, s3
	v_add_co_u32_e32 v52, vcc, s2, v50
	v_addc_co_u32_e32 v53, vcc, v51, v48, vcc
	v_mov_b32_e32 v54, s3
	v_add_co_u32_e32 v56, vcc, s2, v52
	v_addc_co_u32_e32 v57, vcc, v53, v54, vcc
	v_mov_b32_e32 v58, s3
	v_add_co_u32_e32 v60, vcc, s2, v56
	global_load_dwordx4 v[48:51], v[52:53], off
	v_addc_co_u32_e32 v61, vcc, v57, v58, vcc
	v_mov_b32_e32 v62, s3
	global_load_dwordx4 v[52:55], v[56:57], off
	s_waitcnt vmcnt(11)
	v_mul_f64 v[64:65], v[2:3], v[10:11]
	global_load_dwordx4 v[56:59], v[60:61], off
	v_add_co_u32_e32 v60, vcc, s2, v60
	v_addc_co_u32_e32 v61, vcc, v61, v62, vcc
	global_load_dwordx4 v[60:63], v[60:61], off
	v_mul_f64 v[10:11], v[0:1], v[10:11]
	s_waitcnt vmcnt(12)
	v_mul_f64 v[66:67], v[6:7], v[14:15]
	v_mul_f64 v[14:15], v[4:5], v[14:15]
	v_fma_f64 v[0:1], v[0:1], v[8:9], v[64:65]
	s_waitcnt vmcnt(9)
	v_mul_f64 v[68:69], v[26:27], v[18:19]
	v_mul_f64 v[18:19], v[24:25], v[18:19]
	s_waitcnt vmcnt(8)
	v_mul_f64 v[70:71], v[30:31], v[22:23]
	v_mul_f64 v[22:23], v[28:29], v[22:23]
	v_fma_f64 v[2:3], v[2:3], v[8:9], -v[10:11]
	v_fma_f64 v[4:5], v[4:5], v[12:13], v[66:67]
	v_fma_f64 v[6:7], v[6:7], v[12:13], -v[14:15]
	v_fma_f64 v[8:9], v[24:25], v[16:17], v[68:69]
	;; [unrolled: 2-line block ×3, first 2 shown]
	v_fma_f64 v[14:15], v[30:31], v[20:21], -v[22:23]
	s_waitcnt vmcnt(3)
	v_mul_f64 v[73:74], v[50:51], v[34:35]
	v_mul_f64 v[34:35], v[48:49], v[34:35]
	s_waitcnt vmcnt(2)
	v_mul_f64 v[75:76], v[54:55], v[38:39]
	v_mul_f64 v[38:39], v[52:53], v[38:39]
	v_fma_f64 v[16:17], v[48:49], v[32:33], v[73:74]
	v_fma_f64 v[18:19], v[50:51], v[32:33], -v[34:35]
	v_fma_f64 v[20:21], v[52:53], v[36:37], v[75:76]
	v_fma_f64 v[22:23], v[54:55], v[36:37], -v[38:39]
	s_waitcnt vmcnt(1)
	v_mul_f64 v[77:78], v[58:59], v[42:43]
	v_mul_f64 v[42:43], v[56:57], v[42:43]
	s_waitcnt vmcnt(0)
	v_mul_f64 v[79:80], v[62:63], v[46:47]
	v_mul_f64 v[46:47], v[60:61], v[46:47]
	v_fma_f64 v[24:25], v[56:57], v[40:41], v[77:78]
	v_fma_f64 v[26:27], v[58:59], v[40:41], -v[42:43]
	v_fma_f64 v[28:29], v[60:61], v[44:45], v[79:80]
	v_fma_f64 v[30:31], v[62:63], v[44:45], -v[46:47]
	ds_write_b128 v82, v[0:3]
	ds_write_b128 v82, v[4:7] offset:560
	ds_write_b128 v82, v[8:11] offset:1120
	;; [unrolled: 1-line block ×7, first 2 shown]
.LBB0_3:
	s_or_b64 exec, exec, s[6:7]
	s_waitcnt lgkmcnt(0)
	; wave barrier
	s_waitcnt lgkmcnt(0)
                                        ; implicit-def: $vgpr0_vgpr1
                                        ; implicit-def: $vgpr8_vgpr9
                                        ; implicit-def: $vgpr16_vgpr17
                                        ; implicit-def: $vgpr28_vgpr29
                                        ; implicit-def: $vgpr24_vgpr25
                                        ; implicit-def: $vgpr20_vgpr21
                                        ; implicit-def: $vgpr12_vgpr13
                                        ; implicit-def: $vgpr4_vgpr5
	s_and_saveexec_b64 s[2:3], s[0:1]
	s_cbranch_execz .LBB0_5
; %bb.4:
	ds_read_b128 v[0:3], v82
	ds_read_b128 v[4:7], v82 offset:560
	ds_read_b128 v[8:11], v82 offset:1120
	ds_read_b128 v[12:15], v82 offset:1680
	ds_read_b128 v[20:23], v82 offset:2240
	ds_read_b128 v[16:19], v82 offset:2800
	ds_read_b128 v[24:27], v82 offset:3360
	ds_read_b128 v[28:31], v82 offset:3920
.LBB0_5:
	s_or_b64 exec, exec, s[2:3]
	s_waitcnt lgkmcnt(0)
	v_add_f64 v[20:21], v[0:1], -v[20:21]
	v_add_f64 v[22:23], v[2:3], -v[22:23]
	;; [unrolled: 1-line block ×8, first 2 shown]
	v_fma_f64 v[0:1], v[0:1], 2.0, -v[20:21]
	v_fma_f64 v[2:3], v[2:3], 2.0, -v[22:23]
	;; [unrolled: 1-line block ×8, first 2 shown]
	v_add_f64 v[44:45], v[20:21], -v[26:27]
	v_add_f64 v[46:47], v[24:25], v[22:23]
	v_add_f64 v[24:25], v[16:17], -v[30:31]
	v_add_f64 v[26:27], v[28:29], v[18:19]
	v_add_f64 v[8:9], v[0:1], -v[8:9]
	v_add_f64 v[10:11], v[2:3], -v[10:11]
	;; [unrolled: 1-line block ×4, first 2 shown]
	v_fma_f64 v[20:21], v[20:21], 2.0, -v[44:45]
	v_fma_f64 v[22:23], v[22:23], 2.0, -v[46:47]
	;; [unrolled: 1-line block ×4, first 2 shown]
	s_mov_b32 s2, 0x667f3bcd
	s_mov_b32 s3, 0xbfe6a09e
	;; [unrolled: 1-line block ×4, first 2 shown]
	v_fma_f64 v[0:1], v[0:1], 2.0, -v[8:9]
	v_fma_f64 v[2:3], v[2:3], 2.0, -v[10:11]
	;; [unrolled: 1-line block ×4, first 2 shown]
	v_fma_f64 v[28:29], v[16:17], s[2:3], v[20:21]
	v_fma_f64 v[30:31], v[18:19], s[2:3], v[22:23]
	;; [unrolled: 1-line block ×4, first 2 shown]
	v_add_f64 v[52:53], v[8:9], -v[14:15]
	v_add_f64 v[54:55], v[10:11], v[12:13]
	v_add_f64 v[36:37], v[0:1], -v[4:5]
	v_add_f64 v[38:39], v[2:3], -v[6:7]
	v_fma_f64 v[48:49], v[18:19], s[2:3], v[28:29]
	v_fma_f64 v[50:51], v[16:17], s[6:7], v[30:31]
	;; [unrolled: 1-line block ×4, first 2 shown]
	v_fma_f64 v[32:33], v[8:9], 2.0, -v[52:53]
	v_fma_f64 v[34:35], v[10:11], 2.0, -v[54:55]
	;; [unrolled: 1-line block ×8, first 2 shown]
	s_load_dwordx2 s[8:9], s[4:5], 0x8
	v_lshlrev_b16_e32 v84, 3, v81
	s_waitcnt lgkmcnt(0)
	; wave barrier
	s_waitcnt lgkmcnt(0)
	s_and_saveexec_b64 s[2:3], s[0:1]
	s_cbranch_execz .LBB0_7
; %bb.6:
	v_lshlrev_b32_e32 v0, 4, v84
	ds_write_b128 v0, v[24:27]
	ds_write_b128 v0, v[28:31] offset:16
	ds_write_b128 v0, v[32:35] offset:32
	;; [unrolled: 1-line block ×7, first 2 shown]
.LBB0_7:
	s_or_b64 exec, exec, s[2:3]
	s_load_dwordx2 s[4:5], s[4:5], 0x20
	v_cmp_gt_u16_e64 s[2:3], 40, v81
	s_waitcnt lgkmcnt(0)
	; wave barrier
	s_waitcnt lgkmcnt(0)
	s_and_saveexec_b64 s[6:7], s[2:3]
	s_cbranch_execz .LBB0_9
; %bb.8:
	ds_read_b128 v[24:27], v82
	ds_read_b128 v[28:31], v82 offset:640
	ds_read_b128 v[32:35], v82 offset:1280
	;; [unrolled: 1-line block ×6, first 2 shown]
.LBB0_9:
	s_or_b64 exec, exec, s[6:7]
	v_and_b32_e32 v83, 7, v81
	v_mul_u32_u24_e32 v0, 6, v83
	v_lshlrev_b32_e32 v56, 4, v0
	global_load_dwordx4 v[12:15], v56, s[8:9]
	global_load_dwordx4 v[8:11], v56, s[8:9] offset:16
	global_load_dwordx4 v[4:7], v56, s[8:9] offset:32
	;; [unrolled: 1-line block ×5, first 2 shown]
	s_mov_b32 s22, 0xe976ee23
	s_mov_b32 s18, 0x37e14327
	;; [unrolled: 1-line block ×16, first 2 shown]
	v_lshrrev_b32_e32 v85, 3, v81
	s_waitcnt lgkmcnt(0)
	; wave barrier
	s_waitcnt vmcnt(5) lgkmcnt(0)
	v_mul_f64 v[56:57], v[30:31], v[14:15]
	v_mul_f64 v[58:59], v[28:29], v[14:15]
	s_waitcnt vmcnt(4)
	v_mul_f64 v[60:61], v[34:35], v[10:11]
	v_mul_f64 v[62:63], v[32:33], v[10:11]
	s_waitcnt vmcnt(1)
	v_mul_f64 v[70:71], v[50:51], v[18:19]
	s_waitcnt vmcnt(0)
	v_mul_f64 v[73:74], v[54:55], v[22:23]
	v_mul_f64 v[75:76], v[48:49], v[18:19]
	v_mul_f64 v[77:78], v[52:53], v[22:23]
	v_mul_f64 v[64:65], v[46:47], v[6:7]
	v_mul_f64 v[66:67], v[44:45], v[6:7]
	v_mul_f64 v[68:69], v[38:39], v[2:3]
	v_mul_f64 v[79:80], v[36:37], v[2:3]
	v_fma_f64 v[28:29], v[28:29], v[12:13], -v[56:57]
	v_fma_f64 v[30:31], v[30:31], v[12:13], v[58:59]
	v_fma_f64 v[32:33], v[32:33], v[8:9], -v[60:61]
	v_fma_f64 v[34:35], v[34:35], v[8:9], v[62:63]
	v_fma_f64 v[52:53], v[52:53], v[20:21], -v[73:74]
	v_fma_f64 v[48:49], v[48:49], v[16:17], -v[70:71]
	v_fma_f64 v[54:55], v[54:55], v[20:21], v[77:78]
	v_fma_f64 v[50:51], v[50:51], v[16:17], v[75:76]
	v_fma_f64 v[44:45], v[44:45], v[4:5], -v[64:65]
	v_fma_f64 v[46:47], v[46:47], v[4:5], v[66:67]
	v_fma_f64 v[36:37], v[36:37], v[0:1], -v[68:69]
	v_fma_f64 v[38:39], v[38:39], v[0:1], v[79:80]
	v_add_f64 v[56:57], v[28:29], v[52:53]
	v_add_f64 v[58:59], v[32:33], v[48:49]
	;; [unrolled: 1-line block ×4, first 2 shown]
	v_add_f64 v[48:49], v[32:33], -v[48:49]
	v_add_f64 v[34:35], v[34:35], -v[50:51]
	v_add_f64 v[60:61], v[44:45], v[36:37]
	v_add_f64 v[66:67], v[46:47], v[38:39]
	v_add_f64 v[36:37], v[36:37], -v[44:45]
	v_add_f64 v[44:45], v[38:39], -v[46:47]
	;; [unrolled: 1-line block ×4, first 2 shown]
	v_add_f64 v[46:47], v[58:59], v[56:57]
	v_add_f64 v[50:51], v[64:65], v[62:63]
	v_add_f64 v[28:29], v[58:59], -v[56:57]
	v_add_f64 v[68:69], v[56:57], -v[60:61]
	;; [unrolled: 1-line block ×4, first 2 shown]
	v_add_f64 v[56:57], v[36:37], v[48:49]
	v_add_f64 v[64:65], v[36:37], -v[48:49]
	v_add_f64 v[73:74], v[44:45], -v[34:35]
	;; [unrolled: 1-line block ×4, first 2 shown]
	v_add_f64 v[36:37], v[44:45], v[34:35]
	v_add_f64 v[48:49], v[48:49], -v[52:53]
	v_add_f64 v[75:76], v[34:35], -v[54:55]
	v_add_f64 v[46:47], v[60:61], v[46:47]
	v_add_f64 v[50:51], v[66:67], v[50:51]
	v_add_f64 v[44:45], v[54:55], -v[44:45]
	v_add_f64 v[56:57], v[56:57], v[52:53]
	v_mul_f64 v[52:53], v[64:65], s[22:23]
	v_mul_f64 v[34:35], v[73:74], s[22:23]
	v_add_f64 v[30:31], v[60:61], -v[58:59]
	v_add_f64 v[58:59], v[36:37], v[54:55]
	v_mul_f64 v[54:55], v[68:69], s[18:19]
	v_mul_f64 v[60:61], v[48:49], s[24:25]
	;; [unrolled: 1-line block ×4, first 2 shown]
	v_add_f64 v[24:25], v[24:25], v[46:47]
	v_add_f64 v[26:27], v[26:27], v[50:51]
	v_fma_f64 v[62:63], v[70:71], s[26:27], v[52:53]
	v_fma_f64 v[66:67], v[44:45], s[26:27], v[34:35]
	s_mov_b32 s27, 0xbfd5d0dc
	v_fma_f64 v[64:65], v[28:29], s[16:17], -v[54:55]
	v_fma_f64 v[68:69], v[32:33], s[16:17], -v[48:49]
	;; [unrolled: 1-line block ×4, first 2 shown]
	v_fma_f64 v[73:74], v[46:47], s[20:21], v[24:25]
	v_fma_f64 v[77:78], v[50:51], s[20:21], v[26:27]
	;; [unrolled: 1-line block ×8, first 2 shown]
	v_add_f64 v[70:71], v[64:65], v[73:74]
	v_add_f64 v[79:80], v[68:69], v[77:78]
	;; [unrolled: 1-line block ×4, first 2 shown]
	v_add_f64 v[44:45], v[70:71], -v[66:67]
	v_add_f64 v[46:47], v[75:76], v[79:80]
	v_add_f64 v[48:49], v[64:65], -v[54:55]
	v_add_f64 v[50:51], v[62:63], v[68:69]
	s_and_saveexec_b64 s[18:19], s[2:3]
	s_cbranch_execz .LBB0_11
; %bb.10:
	s_mov_b32 s17, 0x3fe77f67
	v_mul_f64 v[38:39], v[38:39], s[6:7]
	v_mul_f64 v[32:33], v[32:33], s[16:17]
	;; [unrolled: 1-line block ×6, first 2 shown]
	v_add_f64 v[52:53], v[60:61], -v[52:53]
	v_add_f64 v[34:35], v[36:37], -v[34:35]
	v_mul_u32_u24_e32 v60, 56, v85
	v_add_f64 v[32:33], v[32:33], -v[38:39]
	v_add_f64 v[28:29], v[28:29], -v[30:31]
	;; [unrolled: 1-line block ×3, first 2 shown]
	v_add_f64 v[36:37], v[56:57], v[52:53]
	v_add_f64 v[56:57], v[58:59], v[34:35]
	v_add_f64 v[34:35], v[68:69], -v[62:63]
	v_add_f64 v[52:53], v[32:33], v[77:78]
	v_add_f64 v[32:33], v[54:55], v[64:65]
	;; [unrolled: 1-line block ×4, first 2 shown]
	v_add_f64 v[38:39], v[52:53], -v[36:37]
	v_add_f64 v[54:55], v[36:37], v[52:53]
	v_add_f64 v[52:53], v[58:59], -v[56:57]
	v_add_f64 v[36:37], v[56:57], v[58:59]
	v_or_b32_e32 v56, v60, v83
	v_lshlrev_b32_e32 v56, 4, v56
	ds_write_b128 v56, v[24:27]
	ds_write_b128 v56, v[44:47] offset:640
	ds_write_b128 v56, v[32:35] offset:128
	;; [unrolled: 1-line block ×6, first 2 shown]
.LBB0_11:
	s_or_b64 exec, exec, s[18:19]
	v_lshlrev_b32_e32 v52, 6, v81
	s_load_dwordx4 s[4:7], s[4:5], 0x0
	s_waitcnt lgkmcnt(0)
	; wave barrier
	s_waitcnt lgkmcnt(0)
	global_load_dwordx4 v[36:39], v52, s[8:9] offset:768
	global_load_dwordx4 v[32:35], v52, s[8:9] offset:784
	;; [unrolled: 1-line block ×4, first 2 shown]
	ds_read_b128 v[52:55], v82
	ds_read_b128 v[56:59], v82 offset:896
	ds_read_b128 v[60:63], v82 offset:1792
	ds_read_b128 v[64:67], v82 offset:2688
	ds_read_b128 v[68:71], v82 offset:3584
	s_mov_b32 s16, 0x134454ff
	s_mov_b32 s17, 0x3fee6f0e
	;; [unrolled: 1-line block ×10, first 2 shown]
	s_waitcnt vmcnt(3) lgkmcnt(3)
	v_mul_f64 v[73:74], v[58:59], v[38:39]
	v_mul_f64 v[75:76], v[56:57], v[38:39]
	s_waitcnt vmcnt(2) lgkmcnt(2)
	v_mul_f64 v[77:78], v[62:63], v[34:35]
	v_mul_f64 v[79:80], v[60:61], v[34:35]
	s_waitcnt vmcnt(1) lgkmcnt(1)
	v_mul_f64 v[86:87], v[66:67], v[30:31]
	s_waitcnt vmcnt(0) lgkmcnt(0)
	v_mul_f64 v[88:89], v[68:69], v[26:27]
	v_mul_f64 v[90:91], v[64:65], v[30:31]
	;; [unrolled: 1-line block ×3, first 2 shown]
	v_fma_f64 v[56:57], v[56:57], v[36:37], -v[73:74]
	v_fma_f64 v[58:59], v[58:59], v[36:37], v[75:76]
	v_fma_f64 v[60:61], v[60:61], v[32:33], -v[77:78]
	v_fma_f64 v[62:63], v[62:63], v[32:33], v[79:80]
	v_fma_f64 v[64:65], v[64:65], v[28:29], -v[86:87]
	v_fma_f64 v[70:71], v[70:71], v[24:25], v[88:89]
	v_fma_f64 v[66:67], v[66:67], v[28:29], v[90:91]
	v_fma_f64 v[68:69], v[68:69], v[24:25], -v[92:93]
	v_add_f64 v[73:74], v[52:53], v[56:57]
	v_add_f64 v[96:97], v[54:55], v[58:59]
	v_add_f64 v[86:87], v[56:57], -v[60:61]
	v_add_f64 v[92:93], v[60:61], -v[56:57]
	v_add_f64 v[75:76], v[60:61], v[64:65]
	v_add_f64 v[106:107], v[58:59], v[70:71]
	;; [unrolled: 1-line block ×3, first 2 shown]
	v_add_f64 v[88:89], v[68:69], -v[64:65]
	v_add_f64 v[90:91], v[56:57], v[68:69]
	v_add_f64 v[77:78], v[58:59], -v[70:71]
	v_add_f64 v[79:80], v[62:63], -v[66:67]
	;; [unrolled: 1-line block ×8, first 2 shown]
	v_add_f64 v[60:61], v[73:74], v[60:61]
	v_fma_f64 v[73:74], v[75:76], -0.5, v[52:53]
	v_add_f64 v[75:76], v[86:87], v[88:89]
	v_fma_f64 v[52:53], v[90:91], -0.5, v[52:53]
	;; [unrolled: 2-line block ×3, first 2 shown]
	v_fma_f64 v[54:55], v[106:107], -0.5, v[54:55]
	v_add_f64 v[104:105], v[70:71], -v[66:67]
	v_add_f64 v[86:87], v[92:93], v[94:95]
	v_add_f64 v[92:93], v[58:59], v[108:109]
	;; [unrolled: 1-line block ×3, first 2 shown]
	v_fma_f64 v[60:61], v[77:78], s[16:17], v[73:74]
	v_fma_f64 v[64:65], v[77:78], s[18:19], v[73:74]
	;; [unrolled: 1-line block ×4, first 2 shown]
	v_add_f64 v[62:63], v[62:63], v[66:67]
	v_fma_f64 v[66:67], v[56:57], s[18:19], v[88:89]
	v_fma_f64 v[88:89], v[56:57], s[16:17], v[88:89]
	;; [unrolled: 1-line block ×4, first 2 shown]
	v_add_f64 v[90:91], v[102:103], v[104:105]
	v_add_f64 v[52:53], v[58:59], v[68:69]
	v_fma_f64 v[58:59], v[79:80], s[8:9], v[60:61]
	v_fma_f64 v[60:61], v[79:80], s[20:21], v[64:65]
	;; [unrolled: 1-line block ×4, first 2 shown]
	v_add_f64 v[54:55], v[62:63], v[70:71]
	v_fma_f64 v[62:63], v[100:101], s[20:21], v[66:67]
	v_fma_f64 v[66:67], v[56:57], s[20:21], v[96:97]
	;; [unrolled: 1-line block ×12, first 2 shown]
	ds_write_b128 v82, v[52:55]
	ds_write_b128 v82, v[56:59] offset:896
	ds_write_b128 v82, v[60:63] offset:1792
	;; [unrolled: 1-line block ×4, first 2 shown]
	s_waitcnt lgkmcnt(0)
	; wave barrier
	s_waitcnt lgkmcnt(0)
	s_and_saveexec_b64 s[8:9], s[0:1]
	s_cbranch_execz .LBB0_13
; %bb.12:
	v_add_co_u32_e32 v77, vcc, s14, v82
	v_mov_b32_e32 v73, s15
	v_addc_co_u32_e32 v78, vcc, 0, v73, vcc
	v_add_co_u32_e32 v90, vcc, 0x1180, v77
	v_addc_co_u32_e32 v91, vcc, 0, v78, vcc
	v_add_co_u32_e32 v77, vcc, 0x1000, v77
	v_addc_co_u32_e32 v78, vcc, 0, v78, vcc
	global_load_dwordx4 v[77:80], v[77:78], off offset:384
	ds_read_b128 v[73:76], v82
	s_waitcnt vmcnt(0) lgkmcnt(0)
	v_mul_f64 v[86:87], v[75:76], v[79:80]
	v_fma_f64 v[86:87], v[73:74], v[77:78], -v[86:87]
	v_mul_f64 v[73:74], v[73:74], v[79:80]
	v_fma_f64 v[88:89], v[75:76], v[77:78], v[73:74]
	global_load_dwordx4 v[77:80], v[90:91], off offset:560
	ds_read_b128 v[73:76], v82 offset:560
	ds_write_b128 v82, v[86:89]
	s_waitcnt vmcnt(0) lgkmcnt(1)
	v_mul_f64 v[86:87], v[75:76], v[79:80]
	v_fma_f64 v[86:87], v[73:74], v[77:78], -v[86:87]
	v_mul_f64 v[73:74], v[73:74], v[79:80]
	v_fma_f64 v[88:89], v[75:76], v[77:78], v[73:74]
	global_load_dwordx4 v[77:80], v[90:91], off offset:1120
	ds_read_b128 v[73:76], v82 offset:1120
	ds_write_b128 v82, v[86:89] offset:560
	s_waitcnt vmcnt(0) lgkmcnt(1)
	v_mul_f64 v[86:87], v[75:76], v[79:80]
	v_fma_f64 v[86:87], v[73:74], v[77:78], -v[86:87]
	v_mul_f64 v[73:74], v[73:74], v[79:80]
	v_fma_f64 v[88:89], v[75:76], v[77:78], v[73:74]
	global_load_dwordx4 v[77:80], v[90:91], off offset:1680
	ds_read_b128 v[73:76], v82 offset:1680
	ds_write_b128 v82, v[86:89] offset:1120
	;; [unrolled: 8-line block ×6, first 2 shown]
	s_waitcnt vmcnt(0) lgkmcnt(1)
	v_mul_f64 v[86:87], v[75:76], v[79:80]
	v_fma_f64 v[86:87], v[73:74], v[77:78], -v[86:87]
	v_mul_f64 v[73:74], v[73:74], v[79:80]
	v_fma_f64 v[88:89], v[75:76], v[77:78], v[73:74]
	ds_write_b128 v82, v[86:89] offset:3920
.LBB0_13:
	s_or_b64 exec, exec, s[8:9]
	s_waitcnt lgkmcnt(0)
	; wave barrier
	s_waitcnt lgkmcnt(0)
	s_and_saveexec_b64 s[8:9], s[0:1]
	s_cbranch_execz .LBB0_15
; %bb.14:
	ds_read_b128 v[52:55], v82
	ds_read_b128 v[56:59], v82 offset:560
	ds_read_b128 v[60:63], v82 offset:1120
	;; [unrolled: 1-line block ×7, first 2 shown]
.LBB0_15:
	s_or_b64 exec, exec, s[8:9]
	s_waitcnt lgkmcnt(3)
	v_add_f64 v[68:69], v[52:53], -v[68:69]
	v_add_f64 v[70:71], v[54:55], -v[70:71]
	s_waitcnt lgkmcnt(1)
	v_add_f64 v[48:49], v[60:61], -v[48:49]
	v_add_f64 v[50:51], v[62:63], -v[50:51]
	;; [unrolled: 1-line block ×4, first 2 shown]
	s_waitcnt lgkmcnt(0)
	v_add_f64 v[40:41], v[64:65], -v[40:41]
	v_add_f64 v[42:43], v[66:67], -v[42:43]
	v_fma_f64 v[52:53], v[52:53], 2.0, -v[68:69]
	v_fma_f64 v[54:55], v[54:55], 2.0, -v[70:71]
	;; [unrolled: 1-line block ×8, first 2 shown]
	v_add_f64 v[73:74], v[50:51], v[68:69]
	v_add_f64 v[75:76], v[70:71], -v[48:49]
	v_add_f64 v[42:43], v[42:43], v[44:45]
	v_add_f64 v[40:41], v[46:47], -v[40:41]
	v_add_f64 v[77:78], v[52:53], -v[60:61]
	;; [unrolled: 1-line block ×5, first 2 shown]
	v_fma_f64 v[88:89], v[68:69], 2.0, -v[73:74]
	v_fma_f64 v[90:91], v[70:71], 2.0, -v[75:76]
	;; [unrolled: 1-line block ×4, first 2 shown]
	s_mov_b32 s8, 0x667f3bcd
	s_mov_b32 s9, 0xbfe6a09e
	;; [unrolled: 1-line block ×4, first 2 shown]
	v_fma_f64 v[52:53], v[52:53], 2.0, -v[77:78]
	v_fma_f64 v[54:55], v[54:55], 2.0, -v[79:80]
	;; [unrolled: 1-line block ×4, first 2 shown]
	v_fma_f64 v[56:57], v[44:45], s[8:9], v[88:89]
	v_fma_f64 v[58:59], v[46:47], s[8:9], v[90:91]
	v_fma_f64 v[68:69], v[42:43], s[10:11], v[73:74]
	v_fma_f64 v[70:71], v[40:41], s[10:11], v[75:76]
	v_add_f64 v[64:65], v[77:78], v[64:65]
	v_add_f64 v[66:67], v[79:80], -v[86:87]
	v_add_f64 v[48:49], v[52:53], -v[48:49]
	;; [unrolled: 1-line block ×3, first 2 shown]
	v_fma_f64 v[60:61], v[46:47], s[10:11], v[56:57]
	v_fma_f64 v[62:63], v[44:45], s[8:9], v[58:59]
	;; [unrolled: 1-line block ×4, first 2 shown]
	s_waitcnt lgkmcnt(0)
	; wave barrier
	v_fma_f64 v[40:41], v[52:53], 2.0, -v[48:49]
	v_fma_f64 v[42:43], v[54:55], 2.0, -v[50:51]
	;; [unrolled: 1-line block ×8, first 2 shown]
	s_and_saveexec_b64 s[8:9], s[0:1]
	s_cbranch_execz .LBB0_17
; %bb.16:
	v_lshlrev_b32_e32 v73, 4, v84
	ds_write_b128 v73, v[40:43]
	ds_write_b128 v73, v[44:47] offset:16
	ds_write_b128 v73, v[52:55] offset:32
	;; [unrolled: 1-line block ×7, first 2 shown]
.LBB0_17:
	s_or_b64 exec, exec, s[8:9]
	s_waitcnt lgkmcnt(0)
	; wave barrier
	s_waitcnt lgkmcnt(0)
	s_and_saveexec_b64 s[8:9], s[2:3]
	s_cbranch_execz .LBB0_19
; %bb.18:
	ds_read_b128 v[40:43], v82
	ds_read_b128 v[44:47], v82 offset:640
	ds_read_b128 v[52:55], v82 offset:1280
	;; [unrolled: 1-line block ×6, first 2 shown]
.LBB0_19:
	s_or_b64 exec, exec, s[8:9]
	s_waitcnt lgkmcnt(0)
	; wave barrier
	s_waitcnt lgkmcnt(0)
	s_and_saveexec_b64 s[8:9], s[2:3]
	s_cbranch_execz .LBB0_21
; %bb.20:
	v_mul_f64 v[68:69], v[14:15], v[46:47]
	v_mul_f64 v[70:71], v[22:23], v[66:67]
	;; [unrolled: 1-line block ×8, first 2 shown]
	v_fma_f64 v[68:69], v[12:13], v[44:45], v[68:69]
	v_fma_f64 v[64:65], v[20:21], v[64:65], v[70:71]
	v_mul_f64 v[18:19], v[18:19], v[60:61]
	v_mul_f64 v[10:11], v[10:11], v[52:53]
	v_fma_f64 v[44:45], v[0:1], v[48:49], v[73:74]
	v_fma_f64 v[70:71], v[4:5], v[56:57], v[75:76]
	;; [unrolled: 1-line block ×4, first 2 shown]
	v_fma_f64 v[20:21], v[20:21], v[66:67], -v[22:23]
	v_fma_f64 v[12:13], v[12:13], v[46:47], -v[14:15]
	;; [unrolled: 1-line block ×4, first 2 shown]
	v_mul_f64 v[6:7], v[6:7], v[56:57]
	v_mul_f64 v[2:3], v[2:3], v[48:49]
	v_add_f64 v[10:11], v[44:45], -v[70:71]
	v_add_f64 v[16:17], v[52:53], -v[60:61]
	;; [unrolled: 1-line block ×3, first 2 shown]
	v_add_f64 v[22:23], v[20:21], v[12:13]
	s_mov_b32 s2, 0xe976ee23
	v_add_f64 v[46:47], v[8:9], v[14:15]
	v_fma_f64 v[4:5], v[4:5], v[58:59], -v[6:7]
	v_fma_f64 v[0:1], v[0:1], v[50:51], -v[2:3]
	s_mov_b32 s3, 0x3fe11646
	v_add_f64 v[2:3], v[10:11], -v[16:17]
	v_add_f64 v[6:7], v[18:19], -v[10:11]
	v_add_f64 v[52:53], v[52:53], v[60:61]
	v_add_f64 v[8:9], v[8:9], -v[14:15]
	v_add_f64 v[48:49], v[46:47], v[22:23]
	v_add_f64 v[44:45], v[44:45], v[70:71]
	;; [unrolled: 1-line block ×3, first 2 shown]
	v_add_f64 v[4:5], v[0:1], -v[4:5]
	v_mul_f64 v[54:55], v[2:3], s[2:3]
	v_add_f64 v[2:3], v[16:17], v[10:11]
	v_add_f64 v[10:11], v[64:65], v[68:69]
	v_add_f64 v[12:13], v[12:13], -v[20:21]
	s_mov_b32 s18, 0x37e14327
	s_mov_b32 s19, 0x3fe948f6
	v_add_f64 v[48:49], v[50:51], v[48:49]
	v_add_f64 v[60:61], v[22:23], -v[50:51]
	v_add_f64 v[20:21], v[4:5], -v[8:9]
	v_add_f64 v[58:59], v[2:3], v[18:19]
	v_add_f64 v[62:63], v[52:53], v[10:11]
	v_add_f64 v[50:51], v[50:51], -v[46:47]
	v_add_f64 v[16:17], v[16:17], -v[18:19]
	;; [unrolled: 1-line block ×3, first 2 shown]
	v_add_f64 v[2:3], v[42:43], v[48:49]
	v_mul_f64 v[42:43], v[60:61], s[18:19]
	v_add_f64 v[4:5], v[8:9], v[4:5]
	v_add_f64 v[8:9], v[8:9], -v[12:13]
	v_add_f64 v[60:61], v[44:45], v[62:63]
	v_add_f64 v[62:63], v[10:11], -v[44:45]
	s_mov_b32 s16, 0xaaaaaaaa
	s_mov_b32 s20, 0x36b3c0b5
	v_mul_f64 v[20:21], v[20:21], s[2:3]
	s_mov_b32 s2, 0x429ad128
	s_mov_b32 s17, 0xbff2aaaa
	;; [unrolled: 1-line block ×4, first 2 shown]
	v_fma_f64 v[48:49], v[48:49], s[16:17], v[2:3]
	v_fma_f64 v[14:15], v[50:51], s[20:21], v[42:43]
	v_add_f64 v[0:1], v[40:41], v[60:61]
	v_mul_f64 v[40:41], v[62:63], s[18:19]
	v_add_f64 v[44:45], v[44:45], -v[52:53]
	v_add_f64 v[22:23], v[46:47], -v[22:23]
	v_mul_f64 v[46:47], v[8:9], s[2:3]
	s_mov_b32 s11, 0xbfd5d0dc
	s_mov_b32 s10, 0xb247c609
	v_mul_f64 v[64:65], v[16:17], s[2:3]
	v_add_f64 v[10:11], v[52:53], -v[10:11]
	v_fma_f64 v[56:57], v[6:7], s[10:11], v[54:55]
	v_mul_f64 v[50:51], v[50:51], s[20:21]
	v_fma_f64 v[66:67], v[18:19], s[10:11], v[20:21]
	s_mov_b32 s11, 0x3fd5d0dc
	v_add_f64 v[62:63], v[14:15], v[48:49]
	v_fma_f64 v[14:15], v[60:61], s[16:17], v[0:1]
	v_fma_f64 v[60:61], v[44:45], s[20:21], v[40:41]
	v_mul_f64 v[44:45], v[44:45], s[20:21]
	v_add_f64 v[12:13], v[4:5], v[12:13]
	v_fma_f64 v[18:19], v[18:19], s[10:11], -v[46:47]
	s_mov_b32 s17, 0xbfe77f67
	s_mov_b32 s16, 0x5476071b
	s_mov_b32 s18, 0x37c3f68c
	v_fma_f64 v[4:5], v[6:7], s[10:11], -v[64:65]
	v_fma_f64 v[6:7], v[22:23], s[16:17], -v[42:43]
	;; [unrolled: 1-line block ×3, first 2 shown]
	s_mov_b32 s17, 0x3fe77f67
	s_mov_b32 s19, 0xbfdc38aa
	v_fma_f64 v[22:23], v[22:23], s[16:17], -v[50:51]
	v_fma_f64 v[16:17], v[16:17], s[2:3], -v[54:55]
	v_fma_f64 v[54:55], v[12:13], s[18:19], v[18:19]
	v_fma_f64 v[18:19], v[10:11], s[16:17], -v[44:45]
	v_fma_f64 v[8:9], v[8:9], s[2:3], -v[20:21]
	v_fma_f64 v[56:57], v[58:59], s[18:19], v[56:57]
	v_add_f64 v[60:61], v[60:61], v[14:15]
	v_fma_f64 v[46:47], v[12:13], s[18:19], v[66:67]
	v_fma_f64 v[42:43], v[58:59], s[18:19], v[4:5]
	v_add_f64 v[50:51], v[6:7], v[48:49]
	v_add_f64 v[52:53], v[40:41], v[14:15]
	;; [unrolled: 1-line block ×3, first 2 shown]
	v_fma_f64 v[16:17], v[58:59], s[18:19], v[16:17]
	v_add_f64 v[44:45], v[18:19], v[14:15]
	v_fma_f64 v[12:13], v[12:13], s[18:19], v[8:9]
	v_add_f64 v[40:41], v[46:47], v[60:61]
	v_add_f64 v[6:7], v[56:57], v[62:63]
	;; [unrolled: 1-line block ×3, first 2 shown]
	v_add_f64 v[22:23], v[50:51], -v[42:43]
	v_add_f64 v[42:43], v[62:63], -v[56:57]
	;; [unrolled: 1-line block ×3, first 2 shown]
	v_add_f64 v[18:19], v[16:17], v[20:21]
	v_add_f64 v[20:21], v[54:55], v[52:53]
	v_add_f64 v[16:17], v[44:45], -v[12:13]
	v_add_f64 v[12:13], v[12:13], v[44:45]
	v_add_f64 v[8:9], v[52:53], -v[54:55]
	v_mul_u32_u24_e32 v44, 56, v85
	v_add_f64 v[4:5], v[60:61], -v[46:47]
	v_or_b32_e32 v44, v44, v83
	v_lshlrev_b32_e32 v44, 4, v44
	ds_write_b128 v44, v[0:3]
	ds_write_b128 v44, v[40:43] offset:128
	ds_write_b128 v44, v[20:23] offset:256
	;; [unrolled: 1-line block ×6, first 2 shown]
.LBB0_21:
	s_or_b64 exec, exec, s[8:9]
	s_waitcnt lgkmcnt(0)
	; wave barrier
	s_waitcnt lgkmcnt(0)
	ds_read_b128 v[0:3], v82 offset:1792
	ds_read_b128 v[4:7], v82 offset:2688
	;; [unrolled: 1-line block ×4, first 2 shown]
	s_mov_b32 s2, 0x134454ff
	s_waitcnt lgkmcnt(3)
	v_mul_f64 v[16:17], v[34:35], v[2:3]
	s_waitcnt lgkmcnt(2)
	v_mul_f64 v[18:19], v[30:31], v[6:7]
	;; [unrolled: 2-line block ×3, first 2 shown]
	v_mul_f64 v[22:23], v[38:39], v[8:9]
	s_mov_b32 s3, 0xbfee6f0e
	s_mov_b32 s8, 0x4755a5e
	s_mov_b32 s9, 0xbfe2cf23
	s_mov_b32 s17, 0x3fee6f0e
	v_fma_f64 v[40:41], v[32:33], v[0:1], v[16:17]
	v_fma_f64 v[42:43], v[28:29], v[4:5], v[18:19]
	ds_read_b128 v[16:19], v82
	s_waitcnt lgkmcnt(1)
	v_mul_f64 v[38:39], v[26:27], v[12:13]
	v_mul_f64 v[0:1], v[34:35], v[0:1]
	;; [unrolled: 1-line block ×4, first 2 shown]
	v_fma_f64 v[8:9], v[36:37], v[8:9], v[20:21]
	v_fma_f64 v[10:11], v[36:37], v[10:11], -v[22:23]
	v_add_f64 v[20:21], v[40:41], v[42:43]
	s_mov_b32 s16, s2
	v_fma_f64 v[14:15], v[24:25], v[14:15], -v[38:39]
	v_fma_f64 v[2:3], v[32:33], v[2:3], -v[0:1]
	;; [unrolled: 1-line block ×3, first 2 shown]
	v_fma_f64 v[12:13], v[24:25], v[12:13], v[26:27]
	s_waitcnt lgkmcnt(0)
	v_add_f64 v[0:1], v[16:17], v[8:9]
	v_add_f64 v[24:25], v[8:9], -v[40:41]
	v_fma_f64 v[4:5], v[20:21], -0.5, v[16:17]
	s_mov_b32 s10, 0x372fe950
	v_add_f64 v[22:23], v[10:11], -v[14:15]
	v_add_f64 v[32:33], v[10:11], v[14:15]
	v_add_f64 v[20:21], v[2:3], -v[6:7]
	v_add_f64 v[26:27], v[12:13], -v[42:43]
	v_add_f64 v[28:29], v[8:9], v[12:13]
	v_add_f64 v[0:1], v[0:1], v[40:41]
	s_mov_b32 s11, 0x3fd3c6ef
	v_add_f64 v[38:39], v[18:19], v[10:11]
	v_fma_f64 v[30:31], v[22:23], s[2:3], v[4:5]
	v_fma_f64 v[34:35], v[22:23], s[16:17], v[4:5]
	s_mov_b32 s19, 0x3fe2cf23
	v_add_f64 v[24:25], v[24:25], v[26:27]
	v_fma_f64 v[16:17], v[28:29], -0.5, v[16:17]
	v_add_f64 v[0:1], v[0:1], v[42:43]
	s_mov_b32 s18, s8
	v_add_f64 v[28:29], v[40:41], -v[8:9]
	v_fma_f64 v[26:27], v[20:21], s[8:9], v[30:31]
	v_add_f64 v[30:31], v[2:3], v[6:7]
	v_add_f64 v[8:9], v[8:9], -v[12:13]
	v_fma_f64 v[36:37], v[20:21], s[16:17], v[16:17]
	v_add_f64 v[0:1], v[0:1], v[12:13]
	v_fma_f64 v[16:17], v[20:21], s[2:3], v[16:17]
	v_fma_f64 v[4:5], v[24:25], s[10:11], v[26:27]
	v_add_f64 v[26:27], v[42:43], -v[12:13]
	v_fma_f64 v[30:31], v[30:31], -0.5, v[18:19]
	v_fma_f64 v[12:13], v[20:21], s[18:19], v[34:35]
	v_add_f64 v[34:35], v[40:41], -v[42:43]
	v_fma_f64 v[18:19], v[32:33], -0.5, v[18:19]
	v_add_f64 v[20:21], v[38:39], v[2:3]
	v_fma_f64 v[32:33], v[22:23], s[8:9], v[36:37]
	v_add_f64 v[36:37], v[10:11], -v[2:3]
	v_add_f64 v[26:27], v[28:29], v[26:27]
	v_fma_f64 v[28:29], v[8:9], s[16:17], v[30:31]
	v_add_f64 v[38:39], v[14:15], -v[6:7]
	v_add_f64 v[2:3], v[2:3], -v[10:11]
	v_fma_f64 v[40:41], v[34:35], s[2:3], v[18:19]
	v_add_f64 v[10:11], v[6:7], -v[14:15]
	v_fma_f64 v[18:19], v[34:35], s[16:17], v[18:19]
	v_fma_f64 v[30:31], v[8:9], s[2:3], v[30:31]
	v_add_f64 v[6:7], v[20:21], v[6:7]
	v_fma_f64 v[16:17], v[22:23], s[18:19], v[16:17]
	v_fma_f64 v[20:21], v[34:35], s[18:19], v[28:29]
	v_add_f64 v[22:23], v[36:37], v[38:39]
	v_fma_f64 v[28:29], v[8:9], s[18:19], v[40:41]
	v_add_f64 v[10:11], v[2:3], v[10:11]
	v_fma_f64 v[18:19], v[8:9], s[8:9], v[18:19]
	v_fma_f64 v[30:31], v[34:35], s[8:9], v[30:31]
	v_add_f64 v[2:3], v[6:7], v[14:15]
	v_fma_f64 v[8:9], v[24:25], s[10:11], v[12:13]
	v_fma_f64 v[12:13], v[26:27], s[10:11], v[32:33]
	;; [unrolled: 1-line block ×7, first 2 shown]
	ds_write_b128 v82, v[0:3]
	ds_write_b128 v82, v[4:7] offset:896
	ds_write_b128 v82, v[12:15] offset:1792
	ds_write_b128 v82, v[16:19] offset:2688
	ds_write_b128 v82, v[8:11] offset:3584
	s_waitcnt lgkmcnt(0)
	; wave barrier
	s_waitcnt lgkmcnt(0)
	s_and_b64 exec, exec, s[0:1]
	s_cbranch_execz .LBB0_23
; %bb.22:
	global_load_dwordx4 v[0:3], v82, s[14:15]
	global_load_dwordx4 v[4:7], v82, s[14:15] offset:560
	global_load_dwordx4 v[8:11], v82, s[14:15] offset:1120
	;; [unrolled: 1-line block ×6, first 2 shown]
	ds_read_b128 v[28:31], v82
	ds_read_b128 v[32:35], v82 offset:560
	ds_read_b128 v[36:39], v82 offset:1120
	;; [unrolled: 1-line block ×7, first 2 shown]
	global_load_dwordx4 v[60:63], v82, s[14:15] offset:3920
	v_mad_u64_u32 v[64:65], s[0:1], s6, v72, 0
	v_mad_u64_u32 v[66:67], s[2:3], s4, v81, 0
	s_mul_i32 s2, s5, 0x230
	s_mul_hi_u32 s3, s4, 0x230
	s_add_i32 s6, s3, s2
	v_mad_u64_u32 v[68:69], s[2:3], s7, v72, v[65:66]
	v_mov_b32_e32 v71, s13
	s_mulk_i32 s4, 0x230
	v_mad_u64_u32 v[69:70], s[2:3], s5, v81, v[67:68]
	v_mov_b32_e32 v65, v68
	v_lshlrev_b64 v[64:65], 4, v[64:65]
	v_mov_b32_e32 v67, v69
	v_lshlrev_b64 v[66:67], 4, v[66:67]
	v_add_co_u32_e32 v64, vcc, s12, v64
	v_addc_co_u32_e32 v65, vcc, v71, v65, vcc
	v_add_co_u32_e32 v64, vcc, v64, v66
	v_addc_co_u32_e32 v65, vcc, v65, v67, vcc
	v_mov_b32_e32 v73, s6
	v_add_co_u32_e32 v66, vcc, s4, v64
	v_addc_co_u32_e32 v67, vcc, v65, v73, vcc
	v_mov_b32_e32 v74, s6
	;; [unrolled: 3-line block ×4, first 2 shown]
	v_add_co_u32_e32 v72, vcc, s4, v70
	v_addc_co_u32_e32 v73, vcc, v71, v75, vcc
	s_mov_b32 s0, 0x1d41d41d
	s_mov_b32 s1, 0x3f6d41d4
	s_waitcnt vmcnt(7) lgkmcnt(7)
	v_mul_f64 v[74:75], v[30:31], v[2:3]
	v_mul_f64 v[2:3], v[28:29], v[2:3]
	s_waitcnt vmcnt(6) lgkmcnt(6)
	v_mul_f64 v[76:77], v[34:35], v[6:7]
	v_mul_f64 v[6:7], v[32:33], v[6:7]
	;; [unrolled: 3-line block ×4, first 2 shown]
	v_fma_f64 v[28:29], v[28:29], v[0:1], v[74:75]
	v_fma_f64 v[2:3], v[0:1], v[30:31], -v[2:3]
	v_fma_f64 v[30:31], v[32:33], v[4:5], v[76:77]
	v_fma_f64 v[6:7], v[4:5], v[34:35], -v[6:7]
	;; [unrolled: 2-line block ×4, first 2 shown]
	s_waitcnt vmcnt(3) lgkmcnt(3)
	v_mul_f64 v[82:83], v[46:47], v[18:19]
	v_mul_f64 v[18:19], v[44:45], v[18:19]
	s_waitcnt vmcnt(2) lgkmcnt(2)
	v_mul_f64 v[84:85], v[50:51], v[22:23]
	v_mul_f64 v[22:23], v[48:49], v[22:23]
	;; [unrolled: 1-line block ×10, first 2 shown]
	s_waitcnt vmcnt(1) lgkmcnt(1)
	v_mul_f64 v[86:87], v[54:55], v[26:27]
	v_mul_f64 v[26:27], v[52:53], v[26:27]
	v_fma_f64 v[36:37], v[44:45], v[16:17], v[82:83]
	v_fma_f64 v[18:19], v[16:17], v[46:47], -v[18:19]
	v_fma_f64 v[28:29], v[48:49], v[20:21], v[84:85]
	v_fma_f64 v[20:21], v[20:21], v[50:51], -v[22:23]
	global_store_dwordx4 v[64:65], v[0:3], off
	global_store_dwordx4 v[66:67], v[4:7], off
	;; [unrolled: 1-line block ×4, first 2 shown]
	s_waitcnt vmcnt(4) lgkmcnt(0)
	v_mul_f64 v[4:5], v[58:59], v[62:63]
	v_mul_f64 v[6:7], v[56:57], v[62:63]
	v_fma_f64 v[8:9], v[52:53], v[24:25], v[86:87]
	v_mul_f64 v[16:17], v[36:37], s[0:1]
	v_mul_f64 v[18:19], v[18:19], s[0:1]
	;; [unrolled: 1-line block ×4, first 2 shown]
	v_fma_f64 v[10:11], v[24:25], v[54:55], -v[26:27]
	v_fma_f64 v[4:5], v[56:57], v[60:61], v[4:5]
	v_fma_f64 v[6:7], v[60:61], v[58:59], -v[6:7]
	v_mov_b32_e32 v13, s6
	v_add_co_u32_e32 v12, vcc, s4, v72
	v_addc_co_u32_e32 v13, vcc, v73, v13, vcc
	global_store_dwordx4 v[72:73], v[16:19], off
	global_store_dwordx4 v[12:13], v[0:3], off
	v_mul_f64 v[4:5], v[4:5], s[0:1]
	v_mul_f64 v[0:1], v[8:9], s[0:1]
	;; [unrolled: 1-line block ×4, first 2 shown]
	v_mov_b32_e32 v9, s6
	v_add_co_u32_e32 v8, vcc, s4, v12
	v_addc_co_u32_e32 v9, vcc, v13, v9, vcc
	global_store_dwordx4 v[8:9], v[0:3], off
	s_nop 0
	v_mov_b32_e32 v1, s6
	v_add_co_u32_e32 v0, vcc, s4, v8
	v_addc_co_u32_e32 v1, vcc, v9, v1, vcc
	global_store_dwordx4 v[0:1], v[4:7], off
.LBB0_23:
	s_endpgm
	.section	.rodata,"a",@progbits
	.p2align	6, 0x0
	.amdhsa_kernel bluestein_single_back_len280_dim1_dp_op_CI_CI
		.amdhsa_group_segment_fixed_size 4480
		.amdhsa_private_segment_fixed_size 0
		.amdhsa_kernarg_size 104
		.amdhsa_user_sgpr_count 6
		.amdhsa_user_sgpr_private_segment_buffer 1
		.amdhsa_user_sgpr_dispatch_ptr 0
		.amdhsa_user_sgpr_queue_ptr 0
		.amdhsa_user_sgpr_kernarg_segment_ptr 1
		.amdhsa_user_sgpr_dispatch_id 0
		.amdhsa_user_sgpr_flat_scratch_init 0
		.amdhsa_user_sgpr_private_segment_size 0
		.amdhsa_uses_dynamic_stack 0
		.amdhsa_system_sgpr_private_segment_wavefront_offset 0
		.amdhsa_system_sgpr_workgroup_id_x 1
		.amdhsa_system_sgpr_workgroup_id_y 0
		.amdhsa_system_sgpr_workgroup_id_z 0
		.amdhsa_system_sgpr_workgroup_info 0
		.amdhsa_system_vgpr_workitem_id 0
		.amdhsa_next_free_vgpr 110
		.amdhsa_next_free_sgpr 28
		.amdhsa_reserve_vcc 1
		.amdhsa_reserve_flat_scratch 0
		.amdhsa_float_round_mode_32 0
		.amdhsa_float_round_mode_16_64 0
		.amdhsa_float_denorm_mode_32 3
		.amdhsa_float_denorm_mode_16_64 3
		.amdhsa_dx10_clamp 1
		.amdhsa_ieee_mode 1
		.amdhsa_fp16_overflow 0
		.amdhsa_exception_fp_ieee_invalid_op 0
		.amdhsa_exception_fp_denorm_src 0
		.amdhsa_exception_fp_ieee_div_zero 0
		.amdhsa_exception_fp_ieee_overflow 0
		.amdhsa_exception_fp_ieee_underflow 0
		.amdhsa_exception_fp_ieee_inexact 0
		.amdhsa_exception_int_div_zero 0
	.end_amdhsa_kernel
	.text
.Lfunc_end0:
	.size	bluestein_single_back_len280_dim1_dp_op_CI_CI, .Lfunc_end0-bluestein_single_back_len280_dim1_dp_op_CI_CI
                                        ; -- End function
	.section	.AMDGPU.csdata,"",@progbits
; Kernel info:
; codeLenInByte = 7372
; NumSgprs: 32
; NumVgprs: 110
; ScratchSize: 0
; MemoryBound: 0
; FloatMode: 240
; IeeeMode: 1
; LDSByteSize: 4480 bytes/workgroup (compile time only)
; SGPRBlocks: 3
; VGPRBlocks: 27
; NumSGPRsForWavesPerEU: 32
; NumVGPRsForWavesPerEU: 110
; Occupancy: 2
; WaveLimiterHint : 1
; COMPUTE_PGM_RSRC2:SCRATCH_EN: 0
; COMPUTE_PGM_RSRC2:USER_SGPR: 6
; COMPUTE_PGM_RSRC2:TRAP_HANDLER: 0
; COMPUTE_PGM_RSRC2:TGID_X_EN: 1
; COMPUTE_PGM_RSRC2:TGID_Y_EN: 0
; COMPUTE_PGM_RSRC2:TGID_Z_EN: 0
; COMPUTE_PGM_RSRC2:TIDIG_COMP_CNT: 0
	.type	__hip_cuid_b058f62ce2f64e94,@object ; @__hip_cuid_b058f62ce2f64e94
	.section	.bss,"aw",@nobits
	.globl	__hip_cuid_b058f62ce2f64e94
__hip_cuid_b058f62ce2f64e94:
	.byte	0                               ; 0x0
	.size	__hip_cuid_b058f62ce2f64e94, 1

	.ident	"AMD clang version 19.0.0git (https://github.com/RadeonOpenCompute/llvm-project roc-6.4.0 25133 c7fe45cf4b819c5991fe208aaa96edf142730f1d)"
	.section	".note.GNU-stack","",@progbits
	.addrsig
	.addrsig_sym __hip_cuid_b058f62ce2f64e94
	.amdgpu_metadata
---
amdhsa.kernels:
  - .args:
      - .actual_access:  read_only
        .address_space:  global
        .offset:         0
        .size:           8
        .value_kind:     global_buffer
      - .actual_access:  read_only
        .address_space:  global
        .offset:         8
        .size:           8
        .value_kind:     global_buffer
      - .actual_access:  read_only
        .address_space:  global
        .offset:         16
        .size:           8
        .value_kind:     global_buffer
      - .actual_access:  read_only
        .address_space:  global
        .offset:         24
        .size:           8
        .value_kind:     global_buffer
      - .actual_access:  read_only
        .address_space:  global
        .offset:         32
        .size:           8
        .value_kind:     global_buffer
      - .offset:         40
        .size:           8
        .value_kind:     by_value
      - .address_space:  global
        .offset:         48
        .size:           8
        .value_kind:     global_buffer
      - .address_space:  global
        .offset:         56
        .size:           8
        .value_kind:     global_buffer
      - .address_space:  global
        .offset:         64
        .size:           8
        .value_kind:     global_buffer
      - .address_space:  global
        .offset:         72
        .size:           8
        .value_kind:     global_buffer
      - .offset:         80
        .size:           4
        .value_kind:     by_value
      - .address_space:  global
        .offset:         88
        .size:           8
        .value_kind:     global_buffer
      - .address_space:  global
        .offset:         96
        .size:           8
        .value_kind:     global_buffer
    .group_segment_fixed_size: 4480
    .kernarg_segment_align: 8
    .kernarg_segment_size: 104
    .language:       OpenCL C
    .language_version:
      - 2
      - 0
    .max_flat_workgroup_size: 56
    .name:           bluestein_single_back_len280_dim1_dp_op_CI_CI
    .private_segment_fixed_size: 0
    .sgpr_count:     32
    .sgpr_spill_count: 0
    .symbol:         bluestein_single_back_len280_dim1_dp_op_CI_CI.kd
    .uniform_work_group_size: 1
    .uses_dynamic_stack: false
    .vgpr_count:     110
    .vgpr_spill_count: 0
    .wavefront_size: 64
amdhsa.target:   amdgcn-amd-amdhsa--gfx906
amdhsa.version:
  - 1
  - 2
...

	.end_amdgpu_metadata
